;; amdgpu-corpus repo=ROCm/aiter kind=harvested arch=n/a opt=n/a

/root/src/amdgpu-assembly/repos/ROCm__aiter/hsa/gfx942/fmha_v3_bwd/bwd_hd192_dq_convert_fp16.co:	file format elf64-amdgpu

Disassembly of section .text:

0000000000002100 <_ZN5aiter30fmha_bwd_hd192_dq_convert_fp16E>:
	s_and_b32 s1, s1, 0xffff                                   // 000000002100: 8601FF01 0000FFFF
	s_load_dwordx2 s[12:13], s[0:1], 0x0                       // 000000002108: C0060300 00000000
	s_load_dwordx2 s[16:17], s[0:1], 0x10                      // 000000002110: C0060400 00000010
	s_load_dword s6, s[0:1], 0x20                              // 000000002118: C0020180 00000020
	s_load_dword s8, s[0:1], 0x40                              // 000000002120: C0020200 00000040
	s_load_dword s9, s[0:1], 0x50                              // 000000002128: C0020240 00000050
	s_load_dword s11, s[0:1], 0x70                             // 000000002130: C00202C0 00000070
	s_load_dword s34, s[0:1], 0x90                             // 000000002138: C0020880 00000090
	s_load_dword s7, s[0:1], 0x30                              // 000000002140: C00201C0 00000030
	s_load_dword s10, s[0:1], 0x60                             // 000000002148: C0020280 00000060
	s_load_dword s35, s[0:1], 0x80                             // 000000002150: C00208C0 00000080
	v_lshrrev_b32_e32 v1, 10, v0                               // 000000002158: 2002008A
	v_lshrrev_b32_e32 v2, 10, v1                               // 00000000215C: 2004028A
	v_and_b32_e32 v2, 0x3ff, v2                                // 000000002160: 260404FF 000003FF
	v_and_b32_e32 v1, 0x3ff, v1                                // 000000002168: 260202FF 000003FF
	v_and_b32_e32 v0, 0x3ff, v0                                // 000000002170: 260000FF 000003FF
	v_lshrrev_b32_e32 v3, 6, v0                                // 000000002178: 20060086
	v_and_b32_e32 v0, 63, v0                                   // 00000000217C: 260000BF
	s_mov_b32 s2, s2                                           // 000000002180: BE820002
	s_mov_b32 s3, s3                                           // 000000002184: BE830003
	s_mov_b32 s4, s4                                           // 000000002188: BE840004
	v_readfirstlane_b32 s24, v3                                // 00000000218C: 7E300503
	s_waitcnt lgkmcnt(0)                                       // 000000002190: BF8CC07F
	s_mov_b32 s15, 0x20000                                     // 000000002194: BE8F00FF 00020000
	s_mov_b32 s19, 0x20000                                     // 00000000219C: BE9300FF 00020000
	s_and_b32 s13, s13, 0xffff                                 // 0000000021A4: 860DFF0D 0000FFFF
	s_and_b32 s17, s17, 0xffff                                 // 0000000021AC: 8611FF11 0000FFFF
	s_or_b32 s13, s13, 0x40000                                 // 0000000021B4: 870DFF0D 00040000
	s_or_b32 s17, s17, 0x40000                                 // 0000000021BC: 8711FF11 00040000
	v_mov_b32_e32 v33, 0                                       // 0000000021C4: 7E420280
	s_mov_b32 s20, s12                                         // 0000000021C8: BE94000C
	s_mov_b32 s21, s13                                         // 0000000021CC: BE95000D
	s_mov_b32 s22, s16                                         // 0000000021D0: BE960010
	s_mov_b32 s23, s17                                         // 0000000021D4: BE970011
	s_mov_b32 s38, 0x7060302                                   // 0000000021D8: BEA600FF 07060302
	s_mul_i32 s25, s8, 64                                      // 0000000021E0: 9219C008
	s_mul_i32 s25, s2, s25                                     // 0000000021E4: 92191902
	s_mul_i32 s26, s35, s8                                     // 0000000021E8: 921A0823
	s_sub_i32 s26, s26, s25                                    // 0000000021EC: 819A191A
	s_mov_b32 s14, s26                                         // 0000000021F0: BE8E001A
	s_add_u32 s12, s25, s20                                    // 0000000021F4: 800C1419
	s_addc_u32 s13, 0, s21                                     // 0000000021F8: 820D1580
	s_mul_i32 s25, s3, s6                                      // 0000000021FC: 92190603
	s_mul_hi_u32 s26, s3, s6                                   // 000000002200: 961A0603
	s_and_b32 s26, s26, 0xffff                                 // 000000002204: 861AFF1A 0000FFFF
	s_add_u32 s12, s12, s25                                    // 00000000220C: 800C190C
	s_addc_u32 s13, s13, s26                                   // 000000002210: 820D1A0D
	s_mul_i32 s25, s4, s7                                      // 000000002214: 92190704
	s_mul_hi_u32 s26, s4, s7                                   // 000000002218: 961A0704
	s_and_b32 s26, s26, 0xffff                                 // 00000000221C: 861AFF1A 0000FFFF
	s_add_u32 s12, s12, s25                                    // 000000002224: 800C190C
	s_addc_u32 s13, s13, s26                                   // 000000002228: 820D1A0D
	s_mul_i32 s25, s11, 64                                     // 00000000222C: 9219C00B
	s_mul_i32 s25, s2, s25                                     // 000000002230: 92191902
	s_mul_i32 s26, s35, s11                                    // 000000002234: 921A0B23
	s_sub_i32 s26, s26, s25                                    // 000000002238: 819A191A
	s_mov_b32 s18, s26                                         // 00000000223C: BE92001A
	s_add_u32 s16, s25, s22                                    // 000000002240: 80101619
	s_addc_u32 s17, 0, s23                                     // 000000002244: 82111780
	s_mul_i32 s25, s3, s9                                      // 000000002248: 92190903
	s_mul_hi_u32 s26, s3, s9                                   // 00000000224C: 961A0903
	s_and_b32 s26, s26, 0xffff                                 // 000000002250: 861AFF1A 0000FFFF
	s_add_u32 s16, s16, s25                                    // 000000002258: 80101910
	s_addc_u32 s17, s17, s26                                   // 00000000225C: 82111A11
	s_mul_i32 s25, s4, s10                                     // 000000002260: 92190A04
	s_mul_hi_u32 s26, s4, s10                                  // 000000002264: 961A0A04
	s_and_b32 s26, s26, 0xffff                                 // 000000002268: 861AFF1A 0000FFFF
	s_add_u32 s16, s16, s25                                    // 000000002270: 80101910
	s_addc_u32 s17, s17, s26                                   // 000000002274: 82111A11
	v_readfirstlane_b32 s24, v3                                // 000000002278: 7E300503
	v_lshrrev_b32_e32 v26, 4, v0                               // 00000000227C: 20340084
	v_mul_i32_i24_e32 v26, s8, v26                             // 000000002280: 0C343408
	v_and_b32_e32 v27, 15, v0                                  // 000000002284: 2636008F
	v_mul_i32_i24_e32 v27, 16, v27                             // 000000002288: 0C363690
	v_add_u32_e32 v27, v26, v27                                // 00000000228C: 6836371A
	v_mov_b32_e32 v4, v27                                      // 000000002290: 7E08031B
	s_mul_i32 s25, 16, s8                                      // 000000002294: 92190890
	s_mul_i32 s25, s24, s25                                    // 000000002298: 92191918
	v_add_u32_e32 v4, s25, v4                                  // 00000000229C: 68080819
	v_mov_b32_e32 v6, 0                                        // 0000000022A0: 7E0C0280
	v_lshrrev_b32_e32 v26, 5, v0                               // 0000000022A4: 20340085
	v_lshlrev_b32_e32 v26, 1, v26                              // 0000000022A8: 24343481
	v_mul_i32_i24_e32 v26, s11, v26                            // 0000000022AC: 0C34340B
	v_and_b32_e32 v27, 15, v0                                  // 0000000022B0: 2636008F
	v_lshlrev_b32_e32 v27, 3, v27                              // 0000000022B4: 24363683
	v_and_b32_e32 v28, 31, v0                                  // 0000000022B8: 2638009F
	v_lshrrev_b32_e32 v28, 4, v28                              // 0000000022BC: 20383884
	v_lshlrev_b32_e32 v28, 2, v28                              // 0000000022C0: 24383882
	v_add_u32_e32 v6, v26, v6                                  // 0000000022C4: 680C0D1A
	v_add_u32_e32 v6, v27, v6                                  // 0000000022C8: 680C0D1B
	v_add_u32_e32 v6, v28, v6                                  // 0000000022CC: 680C0D1C
	s_mul_i32 s25, 16, s11                                     // 0000000022D0: 92190B90
	s_mul_i32 s25, s24, s25                                    // 0000000022D4: 92191918
	v_add_u32_e32 v6, s25, v6                                  // 0000000022D8: 680C0C19
	v_and_b32_e32 v26, 15, v0                                  // 0000000022DC: 2634008F
	v_lshlrev_b32_e32 v26, 2, v26                              // 0000000022E0: 24343482
	s_sub_i32 s25, s34, 0x80                                   // 0000000022E4: 8199FF22 00000080
	v_cmp_lt_u32_e64 s[30:31], v26, s25                        // 0000000022EC: D0C9001E 0000331A
	v_and_b32_e32 v26, 15, v0                                  // 0000000022F4: 2634008F
	v_lshrrev_b32_e32 v26, 1, v26                              // 0000000022F8: 20343481
	v_lshlrev_b32_e32 v26, 3, v26                              // 0000000022FC: 24343483
	s_sub_i32 s25, s34, 0x80                                   // 000000002300: 8199FF22 00000080
	v_cmp_lt_u32_e64 s[32:33], v26, s25                        // 000000002308: D0C90020 0000331A
	v_mov_b32_e32 v30, 0xffff0000                              // 000000002310: 7E3C02FF FFFF0000
	v_mov_b32_e32 v31, 0x7fff0000                              // 000000002318: 7E3E02FF 7FFF0000
	v_mov_b32_e32 v32, 0x7fff                                  // 000000002320: 7E4002FF 00007FFF
	s_mul_i32 s25, s8, 0                                       // 000000002328: 92198008
	s_lshl_b32 s25, s25, 2                                     // 00000000232C: 8E198219
	v_add_u32_e32 v5, s25, v4                                  // 000000002330: 680A0819
	buffer_load_dwordx4 v[8:11], v5, s[12:15], 0 offen         // 000000002334: E05C1000 80030805
	v_add_u32_e32 v5, 0x100, v5                                // 00000000233C: 680A0AFF 00000100
	s_waitcnt vmcnt(0) expcnt(0) lgkmcnt(0)                    // 000000002344: BF8C0000
	s_barrier                                                  // 000000002348: BF8A0000
	v_cvt_pkrtz_f16_f32 v20, v8, v9                            // 00000000234C: D2960014 00021308
	v_cvt_pkrtz_f16_f32 v21, v10, v11                          // 000000002354: D2960015 0002170A
	s_nop 1                                                    // 00000000235C: BF800001
	s_mul_i32 s25, s24, 0x100                                  // 000000002360: 9219FF18 00000100
	s_lshl_b32 s25, s25, 2                                     // 000000002368: 8E198219
	v_mov_b32_e32 v26, v0                                      // 00000000236C: 7E340300
	v_lshlrev_b32_e32 v26, 2, v26                              // 000000002370: 24343482
	v_add_u32_e64 v26, v26, s25                                // 000000002374: D134001A 0000331A
	v_add_u32_e32 v27, 0x100, v26                              // 00000000237C: 683634FF 00000100
	ds_write_b32 v26, v20                                      // 000000002384: D81A0000 0000141A
	ds_write_b32 v27, v21                                      // 00000000238C: D81A0000 0000151B
	s_barrier                                                  // 000000002394: BF8A0000
	v_lshrrev_b32_e32 v26, 4, v0                               // 000000002398: 20340084
	v_and_b32_e64 v27, v26, 1                                  // 00000000239C: D113001B 0001031A
	v_lshrrev_b32_e32 v28, 1, v26                              // 0000000023A4: 20383481
	v_lshlrev_b32_e32 v26, 1, v27                              // 0000000023A8: 24343681
	v_add_u32_e32 v26, v26, v28                                // 0000000023AC: 6834391A
	v_lshlrev_b32_e32 v26, 7, v26                              // 0000000023B0: 24343487
	v_and_b32_e64 v27, v0, 15                                  // 0000000023B4: D113001B 00011F00
	v_lshlrev_b32_e32 v27, 2, v27                              // 0000000023BC: 24363682
	v_add_u32_e32 v26, v27, v26                                // 0000000023C0: 6834351B
	v_add_u32_e64 v26, v26, s25                                // 0000000023C4: D134001A 0000331A
	v_add_u32_e32 v27, 64, v26                                 // 0000000023CC: 683634C0
	ds_read_b32 v20, v26                                       // 0000000023D0: D86C0000 1400001A
	ds_read_b32 v21, v27                                       // 0000000023D8: D86C0000 1500001B
	s_barrier                                                  // 0000000023E0: BF8A0000
	s_nop 1                                                    // 0000000023E4: BF800001
	s_mul_i32 s25, s11, 0                                      // 0000000023E8: 9219800B
	s_lshl_b32 s25, s25, 2                                     // 0000000023EC: 8E198219
	s_lshl_b32 s26, 0, 7                                       // 0000000023F0: 8E1A8780
	v_add_u32_e32 v7, s25, v6                                  // 0000000023F4: 680E0C19
	v_add_u32_e32 v7, s26, v7                                  // 0000000023F8: 680E0E1A
	buffer_store_dword v20, v7, s[16:19], 0 offen              // 0000000023FC: E0701000 80041407
	v_add_u32_e32 v7, s11, v7                                  // 000000002404: 680E0E0B
	buffer_store_dword v21, v7, s[16:19], 0 offen              // 000000002408: E0701000 80041507
	buffer_load_dwordx4 v[12:15], v5, s[12:15], 0 offen        // 000000002410: E05C1000 80030C05
	v_add_u32_e32 v5, 0x100, v5                                // 000000002418: 680A0AFF 00000100
	s_waitcnt vmcnt(0) expcnt(0) lgkmcnt(0)                    // 000000002420: BF8C0000
	s_barrier                                                  // 000000002424: BF8A0000
	v_cvt_pkrtz_f16_f32 v22, v12, v13                          // 000000002428: D2960016 00021B0C
	v_cvt_pkrtz_f16_f32 v23, v14, v15                          // 000000002430: D2960017 00021F0E
	s_nop 1                                                    // 000000002438: BF800001
	s_mul_i32 s25, s24, 0x100                                  // 00000000243C: 9219FF18 00000100
	s_lshl_b32 s25, s25, 2                                     // 000000002444: 8E198219
	v_mov_b32_e32 v26, v0                                      // 000000002448: 7E340300
	v_lshlrev_b32_e32 v26, 2, v26                              // 00000000244C: 24343482
	v_add_u32_e64 v26, v26, s25                                // 000000002450: D134001A 0000331A
	v_add_u32_e32 v27, 0x100, v26                              // 000000002458: 683634FF 00000100
	ds_write_b32 v26, v22                                      // 000000002460: D81A0000 0000161A
	ds_write_b32 v27, v23                                      // 000000002468: D81A0000 0000171B
	s_barrier                                                  // 000000002470: BF8A0000
	v_lshrrev_b32_e32 v26, 4, v0                               // 000000002474: 20340084
	v_and_b32_e64 v27, v26, 1                                  // 000000002478: D113001B 0001031A
	v_lshrrev_b32_e32 v28, 1, v26                              // 000000002480: 20383481
	v_lshlrev_b32_e32 v26, 1, v27                              // 000000002484: 24343681
	v_add_u32_e32 v26, v26, v28                                // 000000002488: 6834391A
	v_lshlrev_b32_e32 v26, 7, v26                              // 00000000248C: 24343487
	v_and_b32_e64 v27, v0, 15                                  // 000000002490: D113001B 00011F00
	v_lshlrev_b32_e32 v27, 2, v27                              // 000000002498: 24363682
	v_add_u32_e32 v26, v27, v26                                // 00000000249C: 6834351B
	v_add_u32_e64 v26, v26, s25                                // 0000000024A0: D134001A 0000331A
	v_add_u32_e32 v27, 64, v26                                 // 0000000024A8: 683634C0
	ds_read_b32 v22, v26                                       // 0000000024AC: D86C0000 1600001A
	ds_read_b32 v23, v27                                       // 0000000024B4: D86C0000 1700001B
	s_barrier                                                  // 0000000024BC: BF8A0000
	s_nop 1                                                    // 0000000024C0: BF800001
	s_mul_i32 s25, s11, 0                                      // 0000000024C4: 9219800B
	s_lshl_b32 s25, s25, 2                                     // 0000000024C8: 8E198219
	s_lshl_b32 s26, 1, 7                                       // 0000000024CC: 8E1A8781
	v_add_u32_e32 v7, s25, v6                                  // 0000000024D0: 680E0C19
	v_add_u32_e32 v7, s26, v7                                  // 0000000024D4: 680E0E1A
	buffer_store_dword v22, v7, s[16:19], 0 offen              // 0000000024D8: E0701000 80041607
	v_add_u32_e32 v7, s11, v7                                  // 0000000024E0: 680E0E0B
	buffer_store_dword v23, v7, s[16:19], 0 offen              // 0000000024E4: E0701000 80041707
	v_mov_b32_e32 v16, 0                                       // 0000000024EC: 7E200280
	v_mov_b32_e32 v17, 0                                       // 0000000024F0: 7E220280
	v_mov_b32_e32 v18, 0                                       // 0000000024F4: 7E240280
	v_mov_b32_e32 v19, 0                                       // 0000000024F8: 7E260280
	s_mov_b64 exec, s[30:31]                                   // 0000000024FC: BEFE011E
	buffer_load_dwordx4 v[16:19], v5, s[12:15], 0 offen        // 000000002500: E05C1000 80031005
	s_mov_b64 exec, -1                                         // 000000002508: BEFE01C1
	v_add_u32_e32 v5, 0x100, v5                                // 00000000250C: 680A0AFF 00000100
	s_waitcnt vmcnt(0) expcnt(0) lgkmcnt(0)                    // 000000002514: BF8C0000
	s_barrier                                                  // 000000002518: BF8A0000
	v_cvt_pkrtz_f16_f32 v24, v16, v17                          // 00000000251C: D2960018 00022310
	v_cvt_pkrtz_f16_f32 v25, v18, v19                          // 000000002524: D2960019 00022712
	s_nop 1                                                    // 00000000252C: BF800001
	s_mul_i32 s25, s24, 0x100                                  // 000000002530: 9219FF18 00000100
	s_lshl_b32 s25, s25, 2                                     // 000000002538: 8E198219
	v_mov_b32_e32 v26, v0                                      // 00000000253C: 7E340300
	v_lshlrev_b32_e32 v26, 2, v26                              // 000000002540: 24343482
	v_add_u32_e64 v26, v26, s25                                // 000000002544: D134001A 0000331A
	v_add_u32_e32 v27, 0x100, v26                              // 00000000254C: 683634FF 00000100
	ds_write_b32 v26, v24                                      // 000000002554: D81A0000 0000181A
	ds_write_b32 v27, v25                                      // 00000000255C: D81A0000 0000191B
	s_barrier                                                  // 000000002564: BF8A0000
	v_lshrrev_b32_e32 v26, 4, v0                               // 000000002568: 20340084
	v_and_b32_e64 v27, v26, 1                                  // 00000000256C: D113001B 0001031A
	v_lshrrev_b32_e32 v28, 1, v26                              // 000000002574: 20383481
	v_lshlrev_b32_e32 v26, 1, v27                              // 000000002578: 24343681
	v_add_u32_e32 v26, v26, v28                                // 00000000257C: 6834391A
	v_lshlrev_b32_e32 v26, 7, v26                              // 000000002580: 24343487
	v_and_b32_e64 v27, v0, 15                                  // 000000002584: D113001B 00011F00
	v_lshlrev_b32_e32 v27, 2, v27                              // 00000000258C: 24363682
	v_add_u32_e32 v26, v27, v26                                // 000000002590: 6834351B
	v_add_u32_e64 v26, v26, s25                                // 000000002594: D134001A 0000331A
	v_add_u32_e32 v27, 64, v26                                 // 00000000259C: 683634C0
	ds_read_b32 v24, v26                                       // 0000000025A0: D86C0000 1800001A
	ds_read_b32 v25, v27                                       // 0000000025A8: D86C0000 1900001B
	s_barrier                                                  // 0000000025B0: BF8A0000
	s_nop 1                                                    // 0000000025B4: BF800001
	s_mul_i32 s25, s11, 0                                      // 0000000025B8: 9219800B
	s_lshl_b32 s25, s25, 2                                     // 0000000025BC: 8E198219
	s_lshl_b32 s26, 2, 7                                       // 0000000025C0: 8E1A8782
	v_add_u32_e32 v7, s25, v6                                  // 0000000025C4: 680E0C19
	v_add_u32_e32 v7, s26, v7                                  // 0000000025C8: 680E0E1A
	s_mov_b64 exec, s[32:33]                                   // 0000000025CC: BEFE0120
	buffer_store_dword v24, v7, s[16:19], 0 offen              // 0000000025D0: E0701000 80041807
	v_add_u32_e32 v7, s11, v7                                  // 0000000025D8: 680E0E0B
	buffer_store_dword v25, v7, s[16:19], 0 offen              // 0000000025DC: E0701000 80041907
	s_mov_b64 exec, -1                                         // 0000000025E4: BEFE01C1
	s_mul_i32 s25, s8, 1                                       // 0000000025E8: 92198108
	s_lshl_b32 s25, s25, 2                                     // 0000000025EC: 8E198219
	v_add_u32_e32 v5, s25, v4                                  // 0000000025F0: 680A0819
	buffer_load_dwordx4 v[8:11], v5, s[12:15], 0 offen         // 0000000025F4: E05C1000 80030805
	v_add_u32_e32 v5, 0x100, v5                                // 0000000025FC: 680A0AFF 00000100
	s_waitcnt vmcnt(0) expcnt(0) lgkmcnt(0)                    // 000000002604: BF8C0000
	s_barrier                                                  // 000000002608: BF8A0000
	v_cvt_pkrtz_f16_f32 v20, v8, v9                            // 00000000260C: D2960014 00021308
	v_cvt_pkrtz_f16_f32 v21, v10, v11                          // 000000002614: D2960015 0002170A
	s_nop 1                                                    // 00000000261C: BF800001
	s_mul_i32 s25, s24, 0x100                                  // 000000002620: 9219FF18 00000100
	s_lshl_b32 s25, s25, 2                                     // 000000002628: 8E198219
	v_mov_b32_e32 v26, v0                                      // 00000000262C: 7E340300
	v_lshlrev_b32_e32 v26, 2, v26                              // 000000002630: 24343482
	v_add_u32_e64 v26, v26, s25                                // 000000002634: D134001A 0000331A
	v_add_u32_e32 v27, 0x100, v26                              // 00000000263C: 683634FF 00000100
	ds_write_b32 v26, v20                                      // 000000002644: D81A0000 0000141A
	ds_write_b32 v27, v21                                      // 00000000264C: D81A0000 0000151B
	s_barrier                                                  // 000000002654: BF8A0000
	v_lshrrev_b32_e32 v26, 4, v0                               // 000000002658: 20340084
	v_and_b32_e64 v27, v26, 1                                  // 00000000265C: D113001B 0001031A
	v_lshrrev_b32_e32 v28, 1, v26                              // 000000002664: 20383481
	v_lshlrev_b32_e32 v26, 1, v27                              // 000000002668: 24343681
	v_add_u32_e32 v26, v26, v28                                // 00000000266C: 6834391A
	v_lshlrev_b32_e32 v26, 7, v26                              // 000000002670: 24343487
	v_and_b32_e64 v27, v0, 15                                  // 000000002674: D113001B 00011F00
	v_lshlrev_b32_e32 v27, 2, v27                              // 00000000267C: 24363682
	v_add_u32_e32 v26, v27, v26                                // 000000002680: 6834351B
	v_add_u32_e64 v26, v26, s25                                // 000000002684: D134001A 0000331A
	v_add_u32_e32 v27, 64, v26                                 // 00000000268C: 683634C0
	ds_read_b32 v20, v26                                       // 000000002690: D86C0000 1400001A
	ds_read_b32 v21, v27                                       // 000000002698: D86C0000 1500001B
	s_barrier                                                  // 0000000026A0: BF8A0000
	s_nop 1                                                    // 0000000026A4: BF800001
	s_mul_i32 s25, s11, 1                                      // 0000000026A8: 9219810B
	s_lshl_b32 s25, s25, 2                                     // 0000000026AC: 8E198219
	s_lshl_b32 s26, 0, 7                                       // 0000000026B0: 8E1A8780
	v_add_u32_e32 v7, s25, v6                                  // 0000000026B4: 680E0C19
	v_add_u32_e32 v7, s26, v7                                  // 0000000026B8: 680E0E1A
	buffer_store_dword v20, v7, s[16:19], 0 offen              // 0000000026BC: E0701000 80041407
	v_add_u32_e32 v7, s11, v7                                  // 0000000026C4: 680E0E0B
	buffer_store_dword v21, v7, s[16:19], 0 offen              // 0000000026C8: E0701000 80041507
	buffer_load_dwordx4 v[12:15], v5, s[12:15], 0 offen        // 0000000026D0: E05C1000 80030C05
	v_add_u32_e32 v5, 0x100, v5                                // 0000000026D8: 680A0AFF 00000100
	s_waitcnt vmcnt(0) expcnt(0) lgkmcnt(0)                    // 0000000026E0: BF8C0000
	s_barrier                                                  // 0000000026E4: BF8A0000
	v_cvt_pkrtz_f16_f32 v22, v12, v13                          // 0000000026E8: D2960016 00021B0C
	v_cvt_pkrtz_f16_f32 v23, v14, v15                          // 0000000026F0: D2960017 00021F0E
	s_nop 1                                                    // 0000000026F8: BF800001
	s_mul_i32 s25, s24, 0x100                                  // 0000000026FC: 9219FF18 00000100
	s_lshl_b32 s25, s25, 2                                     // 000000002704: 8E198219
	v_mov_b32_e32 v26, v0                                      // 000000002708: 7E340300
	v_lshlrev_b32_e32 v26, 2, v26                              // 00000000270C: 24343482
	v_add_u32_e64 v26, v26, s25                                // 000000002710: D134001A 0000331A
	v_add_u32_e32 v27, 0x100, v26                              // 000000002718: 683634FF 00000100
	ds_write_b32 v26, v22                                      // 000000002720: D81A0000 0000161A
	ds_write_b32 v27, v23                                      // 000000002728: D81A0000 0000171B
	s_barrier                                                  // 000000002730: BF8A0000
	v_lshrrev_b32_e32 v26, 4, v0                               // 000000002734: 20340084
	v_and_b32_e64 v27, v26, 1                                  // 000000002738: D113001B 0001031A
	v_lshrrev_b32_e32 v28, 1, v26                              // 000000002740: 20383481
	v_lshlrev_b32_e32 v26, 1, v27                              // 000000002744: 24343681
	v_add_u32_e32 v26, v26, v28                                // 000000002748: 6834391A
	v_lshlrev_b32_e32 v26, 7, v26                              // 00000000274C: 24343487
	v_and_b32_e64 v27, v0, 15                                  // 000000002750: D113001B 00011F00
	v_lshlrev_b32_e32 v27, 2, v27                              // 000000002758: 24363682
	v_add_u32_e32 v26, v27, v26                                // 00000000275C: 6834351B
	v_add_u32_e64 v26, v26, s25                                // 000000002760: D134001A 0000331A
	v_add_u32_e32 v27, 64, v26                                 // 000000002768: 683634C0
	ds_read_b32 v22, v26                                       // 00000000276C: D86C0000 1600001A
	ds_read_b32 v23, v27                                       // 000000002774: D86C0000 1700001B
	s_barrier                                                  // 00000000277C: BF8A0000
	s_nop 1                                                    // 000000002780: BF800001
	s_mul_i32 s25, s11, 1                                      // 000000002784: 9219810B
	s_lshl_b32 s25, s25, 2                                     // 000000002788: 8E198219
	s_lshl_b32 s26, 1, 7                                       // 00000000278C: 8E1A8781
	v_add_u32_e32 v7, s25, v6                                  // 000000002790: 680E0C19
	v_add_u32_e32 v7, s26, v7                                  // 000000002794: 680E0E1A
	buffer_store_dword v22, v7, s[16:19], 0 offen              // 000000002798: E0701000 80041607
	v_add_u32_e32 v7, s11, v7                                  // 0000000027A0: 680E0E0B
	buffer_store_dword v23, v7, s[16:19], 0 offen              // 0000000027A4: E0701000 80041707
	v_mov_b32_e32 v16, 0                                       // 0000000027AC: 7E200280
	v_mov_b32_e32 v17, 0                                       // 0000000027B0: 7E220280
	v_mov_b32_e32 v18, 0                                       // 0000000027B4: 7E240280
	v_mov_b32_e32 v19, 0                                       // 0000000027B8: 7E260280
	s_mov_b64 exec, s[30:31]                                   // 0000000027BC: BEFE011E
	buffer_load_dwordx4 v[16:19], v5, s[12:15], 0 offen        // 0000000027C0: E05C1000 80031005
	s_mov_b64 exec, -1                                         // 0000000027C8: BEFE01C1
	v_add_u32_e32 v5, 0x100, v5                                // 0000000027CC: 680A0AFF 00000100
	s_waitcnt vmcnt(0) expcnt(0) lgkmcnt(0)                    // 0000000027D4: BF8C0000
	s_barrier                                                  // 0000000027D8: BF8A0000
	v_cvt_pkrtz_f16_f32 v24, v16, v17                          // 0000000027DC: D2960018 00022310
	v_cvt_pkrtz_f16_f32 v25, v18, v19                          // 0000000027E4: D2960019 00022712
	s_nop 1                                                    // 0000000027EC: BF800001
	s_mul_i32 s25, s24, 0x100                                  // 0000000027F0: 9219FF18 00000100
	s_lshl_b32 s25, s25, 2                                     // 0000000027F8: 8E198219
	v_mov_b32_e32 v26, v0                                      // 0000000027FC: 7E340300
	v_lshlrev_b32_e32 v26, 2, v26                              // 000000002800: 24343482
	v_add_u32_e64 v26, v26, s25                                // 000000002804: D134001A 0000331A
	v_add_u32_e32 v27, 0x100, v26                              // 00000000280C: 683634FF 00000100
	ds_write_b32 v26, v24                                      // 000000002814: D81A0000 0000181A
	ds_write_b32 v27, v25                                      // 00000000281C: D81A0000 0000191B
	s_barrier                                                  // 000000002824: BF8A0000
	v_lshrrev_b32_e32 v26, 4, v0                               // 000000002828: 20340084
	v_and_b32_e64 v27, v26, 1                                  // 00000000282C: D113001B 0001031A
	v_lshrrev_b32_e32 v28, 1, v26                              // 000000002834: 20383481
	v_lshlrev_b32_e32 v26, 1, v27                              // 000000002838: 24343681
	v_add_u32_e32 v26, v26, v28                                // 00000000283C: 6834391A
	v_lshlrev_b32_e32 v26, 7, v26                              // 000000002840: 24343487
	v_and_b32_e64 v27, v0, 15                                  // 000000002844: D113001B 00011F00
	v_lshlrev_b32_e32 v27, 2, v27                              // 00000000284C: 24363682
	v_add_u32_e32 v26, v27, v26                                // 000000002850: 6834351B
	v_add_u32_e64 v26, v26, s25                                // 000000002854: D134001A 0000331A
	v_add_u32_e32 v27, 64, v26                                 // 00000000285C: 683634C0
	ds_read_b32 v24, v26                                       // 000000002860: D86C0000 1800001A
	ds_read_b32 v25, v27                                       // 000000002868: D86C0000 1900001B
	s_barrier                                                  // 000000002870: BF8A0000
	s_nop 1                                                    // 000000002874: BF800001
	s_mul_i32 s25, s11, 1                                      // 000000002878: 9219810B
	s_lshl_b32 s25, s25, 2                                     // 00000000287C: 8E198219
	s_lshl_b32 s26, 2, 7                                       // 000000002880: 8E1A8782
	v_add_u32_e32 v7, s25, v6                                  // 000000002884: 680E0C19
	v_add_u32_e32 v7, s26, v7                                  // 000000002888: 680E0E1A
	s_mov_b64 exec, s[32:33]                                   // 00000000288C: BEFE0120
	buffer_store_dword v24, v7, s[16:19], 0 offen              // 000000002890: E0701000 80041807
	v_add_u32_e32 v7, s11, v7                                  // 000000002898: 680E0E0B
	buffer_store_dword v25, v7, s[16:19], 0 offen              // 00000000289C: E0701000 80041907
	s_mov_b64 exec, -1                                         // 0000000028A4: BEFE01C1
	s_mul_i32 s25, s8, 2                                       // 0000000028A8: 92198208
	s_lshl_b32 s25, s25, 2                                     // 0000000028AC: 8E198219
	v_add_u32_e32 v5, s25, v4                                  // 0000000028B0: 680A0819
	buffer_load_dwordx4 v[8:11], v5, s[12:15], 0 offen         // 0000000028B4: E05C1000 80030805
	v_add_u32_e32 v5, 0x100, v5                                // 0000000028BC: 680A0AFF 00000100
	s_waitcnt vmcnt(0) expcnt(0) lgkmcnt(0)                    // 0000000028C4: BF8C0000
	s_barrier                                                  // 0000000028C8: BF8A0000
	v_cvt_pkrtz_f16_f32 v20, v8, v9                            // 0000000028CC: D2960014 00021308
	v_cvt_pkrtz_f16_f32 v21, v10, v11                          // 0000000028D4: D2960015 0002170A
	s_nop 1                                                    // 0000000028DC: BF800001
	s_mul_i32 s25, s24, 0x100                                  // 0000000028E0: 9219FF18 00000100
	s_lshl_b32 s25, s25, 2                                     // 0000000028E8: 8E198219
	v_mov_b32_e32 v26, v0                                      // 0000000028EC: 7E340300
	v_lshlrev_b32_e32 v26, 2, v26                              // 0000000028F0: 24343482
	v_add_u32_e64 v26, v26, s25                                // 0000000028F4: D134001A 0000331A
	v_add_u32_e32 v27, 0x100, v26                              // 0000000028FC: 683634FF 00000100
	ds_write_b32 v26, v20                                      // 000000002904: D81A0000 0000141A
	ds_write_b32 v27, v21                                      // 00000000290C: D81A0000 0000151B
	s_barrier                                                  // 000000002914: BF8A0000
	v_lshrrev_b32_e32 v26, 4, v0                               // 000000002918: 20340084
	v_and_b32_e64 v27, v26, 1                                  // 00000000291C: D113001B 0001031A
	v_lshrrev_b32_e32 v28, 1, v26                              // 000000002924: 20383481
	v_lshlrev_b32_e32 v26, 1, v27                              // 000000002928: 24343681
	v_add_u32_e32 v26, v26, v28                                // 00000000292C: 6834391A
	v_lshlrev_b32_e32 v26, 7, v26                              // 000000002930: 24343487
	v_and_b32_e64 v27, v0, 15                                  // 000000002934: D113001B 00011F00
	v_lshlrev_b32_e32 v27, 2, v27                              // 00000000293C: 24363682
	v_add_u32_e32 v26, v27, v26                                // 000000002940: 6834351B
	v_add_u32_e64 v26, v26, s25                                // 000000002944: D134001A 0000331A
	v_add_u32_e32 v27, 64, v26                                 // 00000000294C: 683634C0
	ds_read_b32 v20, v26                                       // 000000002950: D86C0000 1400001A
	ds_read_b32 v21, v27                                       // 000000002958: D86C0000 1500001B
	s_barrier                                                  // 000000002960: BF8A0000
	s_nop 1                                                    // 000000002964: BF800001
	s_mul_i32 s25, s11, 2                                      // 000000002968: 9219820B
	s_lshl_b32 s25, s25, 2                                     // 00000000296C: 8E198219
	s_lshl_b32 s26, 0, 7                                       // 000000002970: 8E1A8780
	v_add_u32_e32 v7, s25, v6                                  // 000000002974: 680E0C19
	v_add_u32_e32 v7, s26, v7                                  // 000000002978: 680E0E1A
	buffer_store_dword v20, v7, s[16:19], 0 offen              // 00000000297C: E0701000 80041407
	v_add_u32_e32 v7, s11, v7                                  // 000000002984: 680E0E0B
	buffer_store_dword v21, v7, s[16:19], 0 offen              // 000000002988: E0701000 80041507
	buffer_load_dwordx4 v[12:15], v5, s[12:15], 0 offen        // 000000002990: E05C1000 80030C05
	v_add_u32_e32 v5, 0x100, v5                                // 000000002998: 680A0AFF 00000100
	s_waitcnt vmcnt(0) expcnt(0) lgkmcnt(0)                    // 0000000029A0: BF8C0000
	s_barrier                                                  // 0000000029A4: BF8A0000
	v_cvt_pkrtz_f16_f32 v22, v12, v13                          // 0000000029A8: D2960016 00021B0C
	v_cvt_pkrtz_f16_f32 v23, v14, v15                          // 0000000029B0: D2960017 00021F0E
	s_nop 1                                                    // 0000000029B8: BF800001
	s_mul_i32 s25, s24, 0x100                                  // 0000000029BC: 9219FF18 00000100
	s_lshl_b32 s25, s25, 2                                     // 0000000029C4: 8E198219
	v_mov_b32_e32 v26, v0                                      // 0000000029C8: 7E340300
	v_lshlrev_b32_e32 v26, 2, v26                              // 0000000029CC: 24343482
	v_add_u32_e64 v26, v26, s25                                // 0000000029D0: D134001A 0000331A
	v_add_u32_e32 v27, 0x100, v26                              // 0000000029D8: 683634FF 00000100
	ds_write_b32 v26, v22                                      // 0000000029E0: D81A0000 0000161A
	ds_write_b32 v27, v23                                      // 0000000029E8: D81A0000 0000171B
	s_barrier                                                  // 0000000029F0: BF8A0000
	v_lshrrev_b32_e32 v26, 4, v0                               // 0000000029F4: 20340084
	v_and_b32_e64 v27, v26, 1                                  // 0000000029F8: D113001B 0001031A
	v_lshrrev_b32_e32 v28, 1, v26                              // 000000002A00: 20383481
	v_lshlrev_b32_e32 v26, 1, v27                              // 000000002A04: 24343681
	v_add_u32_e32 v26, v26, v28                                // 000000002A08: 6834391A
	v_lshlrev_b32_e32 v26, 7, v26                              // 000000002A0C: 24343487
	v_and_b32_e64 v27, v0, 15                                  // 000000002A10: D113001B 00011F00
	v_lshlrev_b32_e32 v27, 2, v27                              // 000000002A18: 24363682
	v_add_u32_e32 v26, v27, v26                                // 000000002A1C: 6834351B
	v_add_u32_e64 v26, v26, s25                                // 000000002A20: D134001A 0000331A
	v_add_u32_e32 v27, 64, v26                                 // 000000002A28: 683634C0
	ds_read_b32 v22, v26                                       // 000000002A2C: D86C0000 1600001A
	ds_read_b32 v23, v27                                       // 000000002A34: D86C0000 1700001B
	s_barrier                                                  // 000000002A3C: BF8A0000
	s_nop 1                                                    // 000000002A40: BF800001
	s_mul_i32 s25, s11, 2                                      // 000000002A44: 9219820B
	s_lshl_b32 s25, s25, 2                                     // 000000002A48: 8E198219
	s_lshl_b32 s26, 1, 7                                       // 000000002A4C: 8E1A8781
	v_add_u32_e32 v7, s25, v6                                  // 000000002A50: 680E0C19
	v_add_u32_e32 v7, s26, v7                                  // 000000002A54: 680E0E1A
	buffer_store_dword v22, v7, s[16:19], 0 offen              // 000000002A58: E0701000 80041607
	v_add_u32_e32 v7, s11, v7                                  // 000000002A60: 680E0E0B
	buffer_store_dword v23, v7, s[16:19], 0 offen              // 000000002A64: E0701000 80041707
	v_mov_b32_e32 v16, 0                                       // 000000002A6C: 7E200280
	v_mov_b32_e32 v17, 0                                       // 000000002A70: 7E220280
	v_mov_b32_e32 v18, 0                                       // 000000002A74: 7E240280
	v_mov_b32_e32 v19, 0                                       // 000000002A78: 7E260280
	s_mov_b64 exec, s[30:31]                                   // 000000002A7C: BEFE011E
	buffer_load_dwordx4 v[16:19], v5, s[12:15], 0 offen        // 000000002A80: E05C1000 80031005
	s_mov_b64 exec, -1                                         // 000000002A88: BEFE01C1
	v_add_u32_e32 v5, 0x100, v5                                // 000000002A8C: 680A0AFF 00000100
	s_waitcnt vmcnt(0) expcnt(0) lgkmcnt(0)                    // 000000002A94: BF8C0000
	s_barrier                                                  // 000000002A98: BF8A0000
	v_cvt_pkrtz_f16_f32 v24, v16, v17                          // 000000002A9C: D2960018 00022310
	v_cvt_pkrtz_f16_f32 v25, v18, v19                          // 000000002AA4: D2960019 00022712
	s_nop 1                                                    // 000000002AAC: BF800001
	s_mul_i32 s25, s24, 0x100                                  // 000000002AB0: 9219FF18 00000100
	s_lshl_b32 s25, s25, 2                                     // 000000002AB8: 8E198219
	v_mov_b32_e32 v26, v0                                      // 000000002ABC: 7E340300
	v_lshlrev_b32_e32 v26, 2, v26                              // 000000002AC0: 24343482
	v_add_u32_e64 v26, v26, s25                                // 000000002AC4: D134001A 0000331A
	v_add_u32_e32 v27, 0x100, v26                              // 000000002ACC: 683634FF 00000100
	ds_write_b32 v26, v24                                      // 000000002AD4: D81A0000 0000181A
	ds_write_b32 v27, v25                                      // 000000002ADC: D81A0000 0000191B
	s_barrier                                                  // 000000002AE4: BF8A0000
	v_lshrrev_b32_e32 v26, 4, v0                               // 000000002AE8: 20340084
	v_and_b32_e64 v27, v26, 1                                  // 000000002AEC: D113001B 0001031A
	v_lshrrev_b32_e32 v28, 1, v26                              // 000000002AF4: 20383481
	v_lshlrev_b32_e32 v26, 1, v27                              // 000000002AF8: 24343681
	v_add_u32_e32 v26, v26, v28                                // 000000002AFC: 6834391A
	v_lshlrev_b32_e32 v26, 7, v26                              // 000000002B00: 24343487
	v_and_b32_e64 v27, v0, 15                                  // 000000002B04: D113001B 00011F00
	v_lshlrev_b32_e32 v27, 2, v27                              // 000000002B0C: 24363682
	v_add_u32_e32 v26, v27, v26                                // 000000002B10: 6834351B
	v_add_u32_e64 v26, v26, s25                                // 000000002B14: D134001A 0000331A
	v_add_u32_e32 v27, 64, v26                                 // 000000002B1C: 683634C0
	ds_read_b32 v24, v26                                       // 000000002B20: D86C0000 1800001A
	ds_read_b32 v25, v27                                       // 000000002B28: D86C0000 1900001B
	s_barrier                                                  // 000000002B30: BF8A0000
	s_nop 1                                                    // 000000002B34: BF800001
	s_mul_i32 s25, s11, 2                                      // 000000002B38: 9219820B
	s_lshl_b32 s25, s25, 2                                     // 000000002B3C: 8E198219
	s_lshl_b32 s26, 2, 7                                       // 000000002B40: 8E1A8782
	v_add_u32_e32 v7, s25, v6                                  // 000000002B44: 680E0C19
	v_add_u32_e32 v7, s26, v7                                  // 000000002B48: 680E0E1A
	s_mov_b64 exec, s[32:33]                                   // 000000002B4C: BEFE0120
	buffer_store_dword v24, v7, s[16:19], 0 offen              // 000000002B50: E0701000 80041807
	v_add_u32_e32 v7, s11, v7                                  // 000000002B58: 680E0E0B
	buffer_store_dword v25, v7, s[16:19], 0 offen              // 000000002B5C: E0701000 80041907
	s_mov_b64 exec, -1                                         // 000000002B64: BEFE01C1
	s_mul_i32 s25, s8, 3                                       // 000000002B68: 92198308
	s_lshl_b32 s25, s25, 2                                     // 000000002B6C: 8E198219
	v_add_u32_e32 v5, s25, v4                                  // 000000002B70: 680A0819
	buffer_load_dwordx4 v[8:11], v5, s[12:15], 0 offen         // 000000002B74: E05C1000 80030805
	v_add_u32_e32 v5, 0x100, v5                                // 000000002B7C: 680A0AFF 00000100
	s_waitcnt vmcnt(0) expcnt(0) lgkmcnt(0)                    // 000000002B84: BF8C0000
	s_barrier                                                  // 000000002B88: BF8A0000
	v_cvt_pkrtz_f16_f32 v20, v8, v9                            // 000000002B8C: D2960014 00021308
	v_cvt_pkrtz_f16_f32 v21, v10, v11                          // 000000002B94: D2960015 0002170A
	s_nop 1                                                    // 000000002B9C: BF800001
	s_mul_i32 s25, s24, 0x100                                  // 000000002BA0: 9219FF18 00000100
	s_lshl_b32 s25, s25, 2                                     // 000000002BA8: 8E198219
	v_mov_b32_e32 v26, v0                                      // 000000002BAC: 7E340300
	v_lshlrev_b32_e32 v26, 2, v26                              // 000000002BB0: 24343482
	v_add_u32_e64 v26, v26, s25                                // 000000002BB4: D134001A 0000331A
	v_add_u32_e32 v27, 0x100, v26                              // 000000002BBC: 683634FF 00000100
	ds_write_b32 v26, v20                                      // 000000002BC4: D81A0000 0000141A
	ds_write_b32 v27, v21                                      // 000000002BCC: D81A0000 0000151B
	s_barrier                                                  // 000000002BD4: BF8A0000
	v_lshrrev_b32_e32 v26, 4, v0                               // 000000002BD8: 20340084
	v_and_b32_e64 v27, v26, 1                                  // 000000002BDC: D113001B 0001031A
	v_lshrrev_b32_e32 v28, 1, v26                              // 000000002BE4: 20383481
	v_lshlrev_b32_e32 v26, 1, v27                              // 000000002BE8: 24343681
	v_add_u32_e32 v26, v26, v28                                // 000000002BEC: 6834391A
	v_lshlrev_b32_e32 v26, 7, v26                              // 000000002BF0: 24343487
	v_and_b32_e64 v27, v0, 15                                  // 000000002BF4: D113001B 00011F00
	v_lshlrev_b32_e32 v27, 2, v27                              // 000000002BFC: 24363682
	v_add_u32_e32 v26, v27, v26                                // 000000002C00: 6834351B
	v_add_u32_e64 v26, v26, s25                                // 000000002C04: D134001A 0000331A
	v_add_u32_e32 v27, 64, v26                                 // 000000002C0C: 683634C0
	ds_read_b32 v20, v26                                       // 000000002C10: D86C0000 1400001A
	ds_read_b32 v21, v27                                       // 000000002C18: D86C0000 1500001B
	s_barrier                                                  // 000000002C20: BF8A0000
	s_nop 1                                                    // 000000002C24: BF800001
	s_mul_i32 s25, s11, 3                                      // 000000002C28: 9219830B
	s_lshl_b32 s25, s25, 2                                     // 000000002C2C: 8E198219
	s_lshl_b32 s26, 0, 7                                       // 000000002C30: 8E1A8780
	v_add_u32_e32 v7, s25, v6                                  // 000000002C34: 680E0C19
	v_add_u32_e32 v7, s26, v7                                  // 000000002C38: 680E0E1A
	buffer_store_dword v20, v7, s[16:19], 0 offen              // 000000002C3C: E0701000 80041407
	v_add_u32_e32 v7, s11, v7                                  // 000000002C44: 680E0E0B
	buffer_store_dword v21, v7, s[16:19], 0 offen              // 000000002C48: E0701000 80041507
	buffer_load_dwordx4 v[12:15], v5, s[12:15], 0 offen        // 000000002C50: E05C1000 80030C05
	v_add_u32_e32 v5, 0x100, v5                                // 000000002C58: 680A0AFF 00000100
	s_waitcnt vmcnt(0) expcnt(0) lgkmcnt(0)                    // 000000002C60: BF8C0000
	s_barrier                                                  // 000000002C64: BF8A0000
	v_cvt_pkrtz_f16_f32 v22, v12, v13                          // 000000002C68: D2960016 00021B0C
	v_cvt_pkrtz_f16_f32 v23, v14, v15                          // 000000002C70: D2960017 00021F0E
	s_nop 1                                                    // 000000002C78: BF800001
	s_mul_i32 s25, s24, 0x100                                  // 000000002C7C: 9219FF18 00000100
	s_lshl_b32 s25, s25, 2                                     // 000000002C84: 8E198219
	v_mov_b32_e32 v26, v0                                      // 000000002C88: 7E340300
	v_lshlrev_b32_e32 v26, 2, v26                              // 000000002C8C: 24343482
	v_add_u32_e64 v26, v26, s25                                // 000000002C90: D134001A 0000331A
	v_add_u32_e32 v27, 0x100, v26                              // 000000002C98: 683634FF 00000100
	ds_write_b32 v26, v22                                      // 000000002CA0: D81A0000 0000161A
	ds_write_b32 v27, v23                                      // 000000002CA8: D81A0000 0000171B
	s_barrier                                                  // 000000002CB0: BF8A0000
	v_lshrrev_b32_e32 v26, 4, v0                               // 000000002CB4: 20340084
	v_and_b32_e64 v27, v26, 1                                  // 000000002CB8: D113001B 0001031A
	v_lshrrev_b32_e32 v28, 1, v26                              // 000000002CC0: 20383481
	v_lshlrev_b32_e32 v26, 1, v27                              // 000000002CC4: 24343681
	v_add_u32_e32 v26, v26, v28                                // 000000002CC8: 6834391A
	v_lshlrev_b32_e32 v26, 7, v26                              // 000000002CCC: 24343487
	v_and_b32_e64 v27, v0, 15                                  // 000000002CD0: D113001B 00011F00
	v_lshlrev_b32_e32 v27, 2, v27                              // 000000002CD8: 24363682
	v_add_u32_e32 v26, v27, v26                                // 000000002CDC: 6834351B
	v_add_u32_e64 v26, v26, s25                                // 000000002CE0: D134001A 0000331A
	v_add_u32_e32 v27, 64, v26                                 // 000000002CE8: 683634C0
	ds_read_b32 v22, v26                                       // 000000002CEC: D86C0000 1600001A
	ds_read_b32 v23, v27                                       // 000000002CF4: D86C0000 1700001B
	s_barrier                                                  // 000000002CFC: BF8A0000
	s_nop 1                                                    // 000000002D00: BF800001
	s_mul_i32 s25, s11, 3                                      // 000000002D04: 9219830B
	s_lshl_b32 s25, s25, 2                                     // 000000002D08: 8E198219
	s_lshl_b32 s26, 1, 7                                       // 000000002D0C: 8E1A8781
	v_add_u32_e32 v7, s25, v6                                  // 000000002D10: 680E0C19
	v_add_u32_e32 v7, s26, v7                                  // 000000002D14: 680E0E1A
	buffer_store_dword v22, v7, s[16:19], 0 offen              // 000000002D18: E0701000 80041607
	v_add_u32_e32 v7, s11, v7                                  // 000000002D20: 680E0E0B
	buffer_store_dword v23, v7, s[16:19], 0 offen              // 000000002D24: E0701000 80041707
	v_mov_b32_e32 v16, 0                                       // 000000002D2C: 7E200280
	v_mov_b32_e32 v17, 0                                       // 000000002D30: 7E220280
	v_mov_b32_e32 v18, 0                                       // 000000002D34: 7E240280
	v_mov_b32_e32 v19, 0                                       // 000000002D38: 7E260280
	s_mov_b64 exec, s[30:31]                                   // 000000002D3C: BEFE011E
	buffer_load_dwordx4 v[16:19], v5, s[12:15], 0 offen        // 000000002D40: E05C1000 80031005
	s_mov_b64 exec, -1                                         // 000000002D48: BEFE01C1
	v_add_u32_e32 v5, 0x100, v5                                // 000000002D4C: 680A0AFF 00000100
	s_waitcnt vmcnt(0) expcnt(0) lgkmcnt(0)                    // 000000002D54: BF8C0000
	s_barrier                                                  // 000000002D58: BF8A0000
	v_cvt_pkrtz_f16_f32 v24, v16, v17                          // 000000002D5C: D2960018 00022310
	v_cvt_pkrtz_f16_f32 v25, v18, v19                          // 000000002D64: D2960019 00022712
	s_nop 1                                                    // 000000002D6C: BF800001
	s_mul_i32 s25, s24, 0x100                                  // 000000002D70: 9219FF18 00000100
	s_lshl_b32 s25, s25, 2                                     // 000000002D78: 8E198219
	v_mov_b32_e32 v26, v0                                      // 000000002D7C: 7E340300
	v_lshlrev_b32_e32 v26, 2, v26                              // 000000002D80: 24343482
	v_add_u32_e64 v26, v26, s25                                // 000000002D84: D134001A 0000331A
	v_add_u32_e32 v27, 0x100, v26                              // 000000002D8C: 683634FF 00000100
	ds_write_b32 v26, v24                                      // 000000002D94: D81A0000 0000181A
	ds_write_b32 v27, v25                                      // 000000002D9C: D81A0000 0000191B
	s_barrier                                                  // 000000002DA4: BF8A0000
	v_lshrrev_b32_e32 v26, 4, v0                               // 000000002DA8: 20340084
	v_and_b32_e64 v27, v26, 1                                  // 000000002DAC: D113001B 0001031A
	v_lshrrev_b32_e32 v28, 1, v26                              // 000000002DB4: 20383481
	v_lshlrev_b32_e32 v26, 1, v27                              // 000000002DB8: 24343681
	v_add_u32_e32 v26, v26, v28                                // 000000002DBC: 6834391A
	v_lshlrev_b32_e32 v26, 7, v26                              // 000000002DC0: 24343487
	v_and_b32_e64 v27, v0, 15                                  // 000000002DC4: D113001B 00011F00
	v_lshlrev_b32_e32 v27, 2, v27                              // 000000002DCC: 24363682
	v_add_u32_e32 v26, v27, v26                                // 000000002DD0: 6834351B
	v_add_u32_e64 v26, v26, s25                                // 000000002DD4: D134001A 0000331A
	v_add_u32_e32 v27, 64, v26                                 // 000000002DDC: 683634C0
	ds_read_b32 v24, v26                                       // 000000002DE0: D86C0000 1800001A
	ds_read_b32 v25, v27                                       // 000000002DE8: D86C0000 1900001B
	s_barrier                                                  // 000000002DF0: BF8A0000
	s_nop 1                                                    // 000000002DF4: BF800001
	s_mul_i32 s25, s11, 3                                      // 000000002DF8: 9219830B
	s_lshl_b32 s25, s25, 2                                     // 000000002DFC: 8E198219
	s_lshl_b32 s26, 2, 7                                       // 000000002E00: 8E1A8782
	v_add_u32_e32 v7, s25, v6                                  // 000000002E04: 680E0C19
	v_add_u32_e32 v7, s26, v7                                  // 000000002E08: 680E0E1A
	s_mov_b64 exec, s[32:33]                                   // 000000002E0C: BEFE0120
	buffer_store_dword v24, v7, s[16:19], 0 offen              // 000000002E10: E0701000 80041807
	v_add_u32_e32 v7, s11, v7                                  // 000000002E18: 680E0E0B
	buffer_store_dword v25, v7, s[16:19], 0 offen              // 000000002E1C: E0701000 80041907
	s_mov_b64 exec, -1                                         // 000000002E24: BEFE01C1
	s_waitcnt vmcnt(0) expcnt(0) lgkmcnt(0)                    // 000000002E28: BF8C0000
	s_endpgm                                                   // 000000002E2C: BF810000
